;; amdgpu-corpus repo=ROCm/aiter kind=compiled arch=gfx906 opt=O3
	.amdgcn_target "amdgcn-amd-amdhsa--gfx906"
	.amdhsa_code_object_version 6
	.section	.text._Z17vector_add_kernelILi256ELi4EEvPKfS1_Pfi,"axG",@progbits,_Z17vector_add_kernelILi256ELi4EEvPKfS1_Pfi,comdat
	.protected	_Z17vector_add_kernelILi256ELi4EEvPKfS1_Pfi ; -- Begin function _Z17vector_add_kernelILi256ELi4EEvPKfS1_Pfi
	.globl	_Z17vector_add_kernelILi256ELi4EEvPKfS1_Pfi
	.p2align	8
	.type	_Z17vector_add_kernelILi256ELi4EEvPKfS1_Pfi,@function
_Z17vector_add_kernelILi256ELi4EEvPKfS1_Pfi: ; @_Z17vector_add_kernelILi256ELi4EEvPKfS1_Pfi
; %bb.0:
	s_load_dword s14, s[6:7], 0x18
	v_lshlrev_b32_e32 v1, 2, v0
	v_lshl_add_u32 v1, s8, 10, v1
	s_waitcnt lgkmcnt(0)
	v_cmp_gt_i32_e32 vcc, s14, v1
	s_and_saveexec_b64 s[0:1], vcc
	s_cbranch_execz .LBB0_3
; %bb.1:
	s_load_dwordx4 s[20:23], s[6:7], 0x0
	s_load_dwordx2 s[0:1], s[6:7], 0x10
	s_load_dword s2, s[4:5], 0xc
	s_mov_b32 s7, 0x20000
	s_mov_b32 s6, -1
	s_waitcnt lgkmcnt(0)
	s_and_b32 s21, s21, 0xffff
	v_lshlrev_b32_e32 v0, 4, v0
	s_and_b32 s9, s23, 0xffff
	s_and_b32 s1, s1, 0xffff
	s_lshl_b32 s15, s2, 2
	v_lshl_add_u32 v0, s8, 12, v0
	s_lshl_b32 s16, s2, 4
	s_mov_b64 s[12:13], 0
	s_mov_b32 s4, s20
	s_mov_b32 s5, s21
	;; [unrolled: 1-line block ×7, first 2 shown]
.LBB0_2:                                ; =>This Inner Loop Header: Depth=1
	buffer_load_dwordx4 v[2:5], v0, s[4:7], 0 offen
	buffer_load_dwordx4 v[6:9], v0, s[8:11], 0 offen
	v_add_u32_e32 v1, s15, v1
	v_cmp_le_i32_e32 vcc, s14, v1
	s_or_b64 s[12:13], vcc, s[12:13]
	s_waitcnt vmcnt(0)
	v_add_f32_e32 v2, v2, v6
	v_add_f32_e32 v3, v3, v7
	;; [unrolled: 1-line block ×4, first 2 shown]
	buffer_store_dwordx4 v[2:5], v0, s[0:3], 0 offen
	v_add_u32_e32 v0, s16, v0
	s_andn2_b64 exec, exec, s[12:13]
	s_cbranch_execnz .LBB0_2
.LBB0_3:
	s_endpgm
	.section	.rodata,"a",@progbits
	.p2align	6, 0x0
	.amdhsa_kernel _Z17vector_add_kernelILi256ELi4EEvPKfS1_Pfi
		.amdhsa_group_segment_fixed_size 0
		.amdhsa_private_segment_fixed_size 0
		.amdhsa_kernarg_size 28
		.amdhsa_user_sgpr_count 8
		.amdhsa_user_sgpr_private_segment_buffer 1
		.amdhsa_user_sgpr_dispatch_ptr 1
		.amdhsa_user_sgpr_queue_ptr 0
		.amdhsa_user_sgpr_kernarg_segment_ptr 1
		.amdhsa_user_sgpr_dispatch_id 0
		.amdhsa_user_sgpr_flat_scratch_init 0
		.amdhsa_user_sgpr_private_segment_size 0
		.amdhsa_uses_dynamic_stack 0
		.amdhsa_system_sgpr_private_segment_wavefront_offset 0
		.amdhsa_system_sgpr_workgroup_id_x 1
		.amdhsa_system_sgpr_workgroup_id_y 0
		.amdhsa_system_sgpr_workgroup_id_z 0
		.amdhsa_system_sgpr_workgroup_info 0
		.amdhsa_system_vgpr_workitem_id 0
		.amdhsa_next_free_vgpr 10
		.amdhsa_next_free_sgpr 24
		.amdhsa_reserve_vcc 1
		.amdhsa_reserve_flat_scratch 0
		.amdhsa_float_round_mode_32 0
		.amdhsa_float_round_mode_16_64 0
		.amdhsa_float_denorm_mode_32 3
		.amdhsa_float_denorm_mode_16_64 3
		.amdhsa_dx10_clamp 1
		.amdhsa_ieee_mode 1
		.amdhsa_fp16_overflow 0
		.amdhsa_exception_fp_ieee_invalid_op 0
		.amdhsa_exception_fp_denorm_src 0
		.amdhsa_exception_fp_ieee_div_zero 0
		.amdhsa_exception_fp_ieee_overflow 0
		.amdhsa_exception_fp_ieee_underflow 0
		.amdhsa_exception_fp_ieee_inexact 0
		.amdhsa_exception_int_div_zero 0
	.end_amdhsa_kernel
	.section	.text._Z17vector_add_kernelILi256ELi4EEvPKfS1_Pfi,"axG",@progbits,_Z17vector_add_kernelILi256ELi4EEvPKfS1_Pfi,comdat
.Lfunc_end0:
	.size	_Z17vector_add_kernelILi256ELi4EEvPKfS1_Pfi, .Lfunc_end0-_Z17vector_add_kernelILi256ELi4EEvPKfS1_Pfi
                                        ; -- End function
	.set _Z17vector_add_kernelILi256ELi4EEvPKfS1_Pfi.num_vgpr, 10
	.set _Z17vector_add_kernelILi256ELi4EEvPKfS1_Pfi.num_agpr, 0
	.set _Z17vector_add_kernelILi256ELi4EEvPKfS1_Pfi.numbered_sgpr, 24
	.set _Z17vector_add_kernelILi256ELi4EEvPKfS1_Pfi.num_named_barrier, 0
	.set _Z17vector_add_kernelILi256ELi4EEvPKfS1_Pfi.private_seg_size, 0
	.set _Z17vector_add_kernelILi256ELi4EEvPKfS1_Pfi.uses_vcc, 1
	.set _Z17vector_add_kernelILi256ELi4EEvPKfS1_Pfi.uses_flat_scratch, 0
	.set _Z17vector_add_kernelILi256ELi4EEvPKfS1_Pfi.has_dyn_sized_stack, 0
	.set _Z17vector_add_kernelILi256ELi4EEvPKfS1_Pfi.has_recursion, 0
	.set _Z17vector_add_kernelILi256ELi4EEvPKfS1_Pfi.has_indirect_call, 0
	.section	.AMDGPU.csdata,"",@progbits
; Kernel info:
; codeLenInByte = 224
; TotalNumSgprs: 28
; NumVgprs: 10
; ScratchSize: 0
; MemoryBound: 0
; FloatMode: 240
; IeeeMode: 1
; LDSByteSize: 0 bytes/workgroup (compile time only)
; SGPRBlocks: 3
; VGPRBlocks: 2
; NumSGPRsForWavesPerEU: 28
; NumVGPRsForWavesPerEU: 10
; Occupancy: 10
; WaveLimiterHint : 0
; COMPUTE_PGM_RSRC2:SCRATCH_EN: 0
; COMPUTE_PGM_RSRC2:USER_SGPR: 8
; COMPUTE_PGM_RSRC2:TRAP_HANDLER: 0
; COMPUTE_PGM_RSRC2:TGID_X_EN: 1
; COMPUTE_PGM_RSRC2:TGID_Y_EN: 0
; COMPUTE_PGM_RSRC2:TGID_Z_EN: 0
; COMPUTE_PGM_RSRC2:TIDIG_COMP_CNT: 0
	.section	.AMDGPU.gpr_maximums,"",@progbits
	.set amdgpu.max_num_vgpr, 0
	.set amdgpu.max_num_agpr, 0
	.set amdgpu.max_num_sgpr, 0
	.section	.AMDGPU.csdata,"",@progbits
	.type	__hip_cuid_e06dd7eebca0e994,@object ; @__hip_cuid_e06dd7eebca0e994
	.section	.bss,"aw",@nobits
	.globl	__hip_cuid_e06dd7eebca0e994
__hip_cuid_e06dd7eebca0e994:
	.byte	0                               ; 0x0
	.size	__hip_cuid_e06dd7eebca0e994, 1

	.ident	"AMD clang version 22.0.0git (https://github.com/RadeonOpenCompute/llvm-project roc-7.2.4 26084 f58b06dce1f9c15707c5f808fd002e18c2accf7e)"
	.section	".note.GNU-stack","",@progbits
	.addrsig
	.addrsig_sym __hip_cuid_e06dd7eebca0e994
	.amdgpu_metadata
---
amdhsa.kernels:
  - .args:
      - .address_space:  global
        .offset:         0
        .size:           8
        .value_kind:     global_buffer
      - .address_space:  global
        .offset:         8
        .size:           8
        .value_kind:     global_buffer
      - .address_space:  global
        .offset:         16
        .size:           8
        .value_kind:     global_buffer
      - .offset:         24
        .size:           4
        .value_kind:     by_value
    .group_segment_fixed_size: 0
    .kernarg_segment_align: 8
    .kernarg_segment_size: 28
    .language:       OpenCL C
    .language_version:
      - 2
      - 0
    .max_flat_workgroup_size: 1024
    .name:           _Z17vector_add_kernelILi256ELi4EEvPKfS1_Pfi
    .private_segment_fixed_size: 0
    .sgpr_count:     28
    .sgpr_spill_count: 0
    .symbol:         _Z17vector_add_kernelILi256ELi4EEvPKfS1_Pfi.kd
    .uniform_work_group_size: 1
    .uses_dynamic_stack: false
    .vgpr_count:     10
    .vgpr_spill_count: 0
    .wavefront_size: 64
amdhsa.target:   amdgcn-amd-amdhsa--gfx906
amdhsa.version:
  - 1
  - 2
...

	.end_amdgpu_metadata
